;; amdgpu-corpus repo=zjin-lcf/HeCBench kind=compiled arch=gfx90a opt=O3
	.text
	.amdgcn_target "amdgcn-amd-amdhsa--gfx90a"
	.amdhsa_code_object_version 6
	.protected	_Z17chemicalPotentialPA256_A256_KdPA256_A256_dddddddd ; -- Begin function _Z17chemicalPotentialPA256_A256_KdPA256_A256_dddddddd
	.globl	_Z17chemicalPotentialPA256_A256_KdPA256_A256_dddddddd
	.p2align	8
	.type	_Z17chemicalPotentialPA256_A256_KdPA256_A256_dddddddd,@function
_Z17chemicalPotentialPA256_A256_KdPA256_A256_dddddddd: ; @_Z17chemicalPotentialPA256_A256_KdPA256_A256_dddddddd
; %bb.0:
	s_load_dwordx2 s[0:1], s[4:5], 0x54
	v_and_b32_e32 v1, 0x3ff, v0
	s_waitcnt lgkmcnt(0)
	s_lshr_b32 s2, s0, 16
	s_and_b32 s0, s0, 0xffff
	s_and_b32 s1, s1, 0xffff
	s_mul_i32 s6, s6, s0
	v_add_u32_e32 v8, s6, v1
	s_mul_i32 s8, s8, s1
	s_mul_i32 s7, s7, s2
	v_bfe_u32 v1, v0, 10, 10
	v_bfe_u32 v0, v0, 20, 10
	v_add_u32_e32 v10, s7, v1
	v_add_u32_e32 v6, s8, v0
	v_or3_b32 v0, v10, v8, v6
	s_movk_i32 s0, 0x100
	v_cmp_gt_u32_e32 vcc, s0, v0
	s_and_saveexec_b64 s[0:1], vcc
	s_cbranch_execz .LBB0_2
; %bb.1:
	s_load_dwordx16 s[8:23], s[4:5], 0x0
	v_mov_b32_e32 v7, 0
	v_lshlrev_b64 v[0:1], 19, v[6:7]
	v_mov_b32_e32 v11, v7
	v_mov_b32_e32 v9, v7
	s_waitcnt lgkmcnt(0)
	v_mov_b32_e32 v2, s9
	v_add_co_u32_e32 v19, vcc, s8, v0
	v_addc_co_u32_e32 v21, vcc, v2, v1, vcc
	v_lshlrev_b64 v[2:3], 11, v[10:11]
	v_add_co_u32_e32 v11, vcc, v19, v2
	v_addc_co_u32_e32 v17, vcc, v21, v3, vcc
	v_lshlrev_b64 v[4:5], 3, v[8:9]
	v_add_co_u32_e32 v12, vcc, v11, v4
	v_addc_co_u32_e32 v13, vcc, v17, v5, vcc
	v_add_u32_e32 v9, -1, v8
	v_mov_b32_e32 v20, 0xff
	v_cmp_lt_i32_e32 vcc, 0, v8
	v_add_u32_e32 v15, -1, v10
	v_cndmask_b32_e32 v14, v20, v9, vcc
	v_cmp_lt_i32_e32 vcc, 0, v10
	v_add_u32_e32 v18, -1, v6
	s_movk_i32 s0, 0xff
	v_cndmask_b32_e32 v16, v20, v15, vcc
	v_cmp_ne_u32_e32 vcc, 0, v6
	v_cndmask_b32_e32 v18, v20, v18, vcc
	v_add_u32_e32 v9, 1, v6
	v_cmp_gt_u32_e32 vcc, s0, v6
	v_cndmask_b32_e32 v20, 0, v9, vcc
	v_add_u32_e32 v6, 1, v10
	v_cmp_gt_i32_e32 vcc, s0, v10
	v_cndmask_b32_e32 v10, 0, v6, vcc
	v_add_u32_e32 v6, 1, v8
	v_cmp_gt_i32_e32 vcc, s0, v8
	v_cndmask_b32_e32 v6, 0, v6, vcc
	v_lshlrev_b64 v[8:9], 3, v[6:7]
	v_add_co_u32_e32 v8, vcc, v11, v8
	v_mov_b32_e32 v15, v7
	v_addc_co_u32_e32 v9, vcc, v17, v9, vcc
	v_lshlrev_b64 v[14:15], 3, v[14:15]
	v_add_co_u32_e32 v14, vcc, v11, v14
	v_mov_b32_e32 v11, v7
	v_addc_co_u32_e32 v15, vcc, v17, v15, vcc
	v_lshlrev_b64 v[10:11], 11, v[10:11]
	v_add_co_u32_e32 v6, vcc, v19, v10
	v_addc_co_u32_e32 v11, vcc, v21, v11, vcc
	v_add_co_u32_e32 v10, vcc, v6, v4
	v_addc_co_u32_e32 v11, vcc, v11, v5, vcc
	global_load_dwordx2 v[22:23], v[12:13], off
	global_load_dwordx2 v[24:25], v[8:9], off
	;; [unrolled: 1-line block ×4, first 2 shown]
	v_mov_b32_e32 v17, v7
	v_lshlrev_b64 v[8:9], 11, v[16:17]
	v_add_co_u32_e32 v6, vcc, v19, v8
	v_addc_co_u32_e32 v9, vcc, v21, v9, vcc
	v_add_co_u32_e32 v8, vcc, v6, v4
	v_mov_b32_e32 v21, v7
	v_addc_co_u32_e32 v9, vcc, v9, v5, vcc
	v_lshlrev_b64 v[10:11], 19, v[20:21]
	v_mov_b32_e32 v6, s9
	v_add_co_u32_e32 v10, vcc, s8, v10
	v_addc_co_u32_e32 v6, vcc, v6, v11, vcc
	v_add_co_u32_e32 v10, vcc, v10, v2
	v_addc_co_u32_e32 v6, vcc, v6, v3, vcc
	global_load_dwordx2 v[8:9], v[8:9], off
	v_add_co_u32_e32 v10, vcc, v10, v4
	v_mov_b32_e32 v19, v7
	v_addc_co_u32_e32 v11, vcc, v6, v5, vcc
	v_lshlrev_b64 v[6:7], 19, v[18:19]
	v_mov_b32_e32 v12, s9
	v_add_co_u32_e32 v6, vcc, s8, v6
	v_addc_co_u32_e32 v7, vcc, v12, v7, vcc
	v_add_co_u32_e32 v6, vcc, v6, v2
	v_addc_co_u32_e32 v7, vcc, v7, v3, vcc
	;; [unrolled: 2-line block ×3, first 2 shown]
	global_load_dwordx2 v[12:13], v[10:11], off
	global_load_dwordx2 v[14:15], v[6:7], off
	s_load_dwordx2 s[0:1], s[4:5], 0x40
	v_mul_f64 v[16:17], s[12:13], s[12:13]
	s_waitcnt vmcnt(6)
	v_add_f64 v[10:11], v[22:23], -1.0
	v_add_f64 v[6:7], v[22:23], 1.0
	v_mul_f64 v[10:11], v[10:11], s[22:23]
	v_fmac_f64_e32 v[10:11], s[20:21], v[6:7]
	v_add_f64 v[6:7], v[22:23], v[22:23]
	s_waitcnt lgkmcnt(0)
	v_fma_f64 v[6:7], -v[6:7], s[0:1], v[10:11]
	s_mov_b32 s0, 0
	s_waitcnt vmcnt(4)
	v_add_f64 v[10:11], v[24:25], v[26:27]
	s_mov_b32 s1, 0x40120000
	v_fmac_f64_e32 v[10:11], -2.0, v[22:23]
	v_mul_f64 v[6:7], v[6:7], s[0:1]
	v_div_scale_f64 v[18:19], s[0:1], v[16:17], v[16:17], v[10:11]
	v_rcp_f64_e32 v[20:21], v[18:19]
	v_fmac_f64_e32 v[6:7], 0x40080000, v[22:23]
	v_mul_f64 v[24:25], v[22:23], v[22:23]
	v_fmac_f64_e32 v[6:7], v[22:23], v[24:25]
	v_fma_f64 v[24:25], -v[18:19], v[20:21], 1.0
	v_fmac_f64_e32 v[20:21], v[20:21], v[24:25]
	v_fma_f64 v[24:25], -v[18:19], v[20:21], 1.0
	v_fmac_f64_e32 v[20:21], v[20:21], v[24:25]
	v_div_scale_f64 v[24:25], vcc, v[10:11], v[16:17], v[10:11]
	v_mul_f64 v[26:27], v[24:25], v[20:21]
	v_fma_f64 v[18:19], -v[18:19], v[26:27], v[24:25]
	s_waitcnt vmcnt(2)
	v_add_f64 v[8:9], v[28:29], v[8:9]
	v_fmac_f64_e32 v[8:9], -2.0, v[22:23]
	v_mul_f64 v[24:25], s[14:15], s[14:15]
	v_div_scale_f64 v[28:29], s[0:1], v[24:25], v[24:25], v[8:9]
	v_rcp_f64_e32 v[30:31], v[28:29]
	v_div_fmas_f64 v[18:19], v[18:19], v[20:21], v[26:27]
	v_div_fixup_f64 v[10:11], v[18:19], v[16:17], v[10:11]
	v_fma_f64 v[16:17], -v[28:29], v[30:31], 1.0
	v_fmac_f64_e32 v[30:31], v[30:31], v[16:17]
	v_fma_f64 v[16:17], -v[28:29], v[30:31], 1.0
	v_fmac_f64_e32 v[30:31], v[30:31], v[16:17]
	v_div_scale_f64 v[16:17], vcc, v[8:9], v[24:25], v[8:9]
	v_mul_f64 v[18:19], v[16:17], v[30:31]
	v_fma_f64 v[16:17], -v[28:29], v[18:19], v[16:17]
	s_waitcnt vmcnt(0)
	v_add_f64 v[12:13], v[12:13], v[14:15]
	v_fmac_f64_e32 v[12:13], -2.0, v[22:23]
	v_mul_f64 v[14:15], s[16:17], s[16:17]
	v_div_scale_f64 v[20:21], s[0:1], v[14:15], v[14:15], v[12:13]
	v_rcp_f64_e32 v[22:23], v[20:21]
	v_div_fmas_f64 v[16:17], v[16:17], v[30:31], v[18:19]
	v_div_fixup_f64 v[8:9], v[16:17], v[24:25], v[8:9]
	v_add_f64 v[8:9], v[10:11], v[8:9]
	v_fma_f64 v[16:17], -v[20:21], v[22:23], 1.0
	v_fmac_f64_e32 v[22:23], v[22:23], v[16:17]
	v_fma_f64 v[16:17], -v[20:21], v[22:23], 1.0
	v_fmac_f64_e32 v[22:23], v[22:23], v[16:17]
	v_div_scale_f64 v[16:17], vcc, v[12:13], v[14:15], v[12:13]
	v_mul_f64 v[18:19], v[16:17], v[22:23]
	v_fma_f64 v[16:17], -v[20:21], v[18:19], v[16:17]
	s_nop 1
	v_div_fmas_f64 v[16:17], v[16:17], v[22:23], v[18:19]
	v_div_fixup_f64 v[12:13], v[16:17], v[14:15], v[12:13]
	v_add_f64 v[8:9], v[8:9], v[12:13]
	v_fma_f64 v[6:7], -v[8:9], s[18:19], v[6:7]
	v_mov_b32_e32 v8, s11
	v_add_co_u32_e32 v0, vcc, s10, v0
	v_addc_co_u32_e32 v1, vcc, v8, v1, vcc
	v_add_co_u32_e32 v0, vcc, v0, v2
	v_addc_co_u32_e32 v1, vcc, v1, v3, vcc
	;; [unrolled: 2-line block ×3, first 2 shown]
	global_store_dwordx2 v[0:1], v[6:7], off
.LBB0_2:
	s_endpgm
	.section	.rodata,"a",@progbits
	.p2align	6, 0x0
	.amdhsa_kernel _Z17chemicalPotentialPA256_A256_KdPA256_A256_dddddddd
		.amdhsa_group_segment_fixed_size 0
		.amdhsa_private_segment_fixed_size 0
		.amdhsa_kernarg_size 328
		.amdhsa_user_sgpr_count 6
		.amdhsa_user_sgpr_private_segment_buffer 1
		.amdhsa_user_sgpr_dispatch_ptr 0
		.amdhsa_user_sgpr_queue_ptr 0
		.amdhsa_user_sgpr_kernarg_segment_ptr 1
		.amdhsa_user_sgpr_dispatch_id 0
		.amdhsa_user_sgpr_flat_scratch_init 0
		.amdhsa_user_sgpr_kernarg_preload_length 0
		.amdhsa_user_sgpr_kernarg_preload_offset 0
		.amdhsa_user_sgpr_private_segment_size 0
		.amdhsa_uses_dynamic_stack 0
		.amdhsa_system_sgpr_private_segment_wavefront_offset 0
		.amdhsa_system_sgpr_workgroup_id_x 1
		.amdhsa_system_sgpr_workgroup_id_y 1
		.amdhsa_system_sgpr_workgroup_id_z 1
		.amdhsa_system_sgpr_workgroup_info 0
		.amdhsa_system_vgpr_workitem_id 2
		.amdhsa_next_free_vgpr 32
		.amdhsa_next_free_sgpr 24
		.amdhsa_accum_offset 32
		.amdhsa_reserve_vcc 1
		.amdhsa_reserve_flat_scratch 0
		.amdhsa_float_round_mode_32 0
		.amdhsa_float_round_mode_16_64 0
		.amdhsa_float_denorm_mode_32 3
		.amdhsa_float_denorm_mode_16_64 3
		.amdhsa_dx10_clamp 1
		.amdhsa_ieee_mode 1
		.amdhsa_fp16_overflow 0
		.amdhsa_tg_split 0
		.amdhsa_exception_fp_ieee_invalid_op 0
		.amdhsa_exception_fp_denorm_src 0
		.amdhsa_exception_fp_ieee_div_zero 0
		.amdhsa_exception_fp_ieee_overflow 0
		.amdhsa_exception_fp_ieee_underflow 0
		.amdhsa_exception_fp_ieee_inexact 0
		.amdhsa_exception_int_div_zero 0
	.end_amdhsa_kernel
	.text
.Lfunc_end0:
	.size	_Z17chemicalPotentialPA256_A256_KdPA256_A256_dddddddd, .Lfunc_end0-_Z17chemicalPotentialPA256_A256_KdPA256_A256_dddddddd
                                        ; -- End function
	.section	.AMDGPU.csdata,"",@progbits
; Kernel info:
; codeLenInByte = 960
; NumSgprs: 28
; NumVgprs: 32
; NumAgprs: 0
; TotalNumVgprs: 32
; ScratchSize: 0
; MemoryBound: 0
; FloatMode: 240
; IeeeMode: 1
; LDSByteSize: 0 bytes/workgroup (compile time only)
; SGPRBlocks: 3
; VGPRBlocks: 3
; NumSGPRsForWavesPerEU: 28
; NumVGPRsForWavesPerEU: 32
; AccumOffset: 32
; Occupancy: 8
; WaveLimiterHint : 0
; COMPUTE_PGM_RSRC2:SCRATCH_EN: 0
; COMPUTE_PGM_RSRC2:USER_SGPR: 6
; COMPUTE_PGM_RSRC2:TRAP_HANDLER: 0
; COMPUTE_PGM_RSRC2:TGID_X_EN: 1
; COMPUTE_PGM_RSRC2:TGID_Y_EN: 1
; COMPUTE_PGM_RSRC2:TGID_Z_EN: 1
; COMPUTE_PGM_RSRC2:TIDIG_COMP_CNT: 2
; COMPUTE_PGM_RSRC3_GFX90A:ACCUM_OFFSET: 7
; COMPUTE_PGM_RSRC3_GFX90A:TG_SPLIT: 0
	.text
	.protected	_Z25localFreeEnergyFunctionalPA256_A256_KdPA256_A256_dddddddd ; -- Begin function _Z25localFreeEnergyFunctionalPA256_A256_KdPA256_A256_dddddddd
	.globl	_Z25localFreeEnergyFunctionalPA256_A256_KdPA256_A256_dddddddd
	.p2align	8
	.type	_Z25localFreeEnergyFunctionalPA256_A256_KdPA256_A256_dddddddd,@function
_Z25localFreeEnergyFunctionalPA256_A256_KdPA256_A256_dddddddd: ; @_Z25localFreeEnergyFunctionalPA256_A256_KdPA256_A256_dddddddd
; %bb.0:
	s_load_dwordx2 s[0:1], s[4:5], 0x54
	v_and_b32_e32 v1, 0x3ff, v0
	s_waitcnt lgkmcnt(0)
	s_lshr_b32 s2, s0, 16
	s_and_b32 s0, s0, 0xffff
	s_and_b32 s1, s1, 0xffff
	s_mul_i32 s6, s6, s0
	v_add_u32_e32 v12, s6, v1
	s_mul_i32 s8, s8, s1
	s_mul_i32 s7, s7, s2
	v_bfe_u32 v1, v0, 10, 10
	v_bfe_u32 v0, v0, 20, 10
	v_add_u32_e32 v10, s7, v1
	v_add_u32_e32 v6, s8, v0
	v_or3_b32 v0, v10, v12, v6
	s_movk_i32 s0, 0x100
	v_cmp_gt_u32_e32 vcc, s0, v0
	s_and_saveexec_b64 s[0:1], vcc
	s_cbranch_execz .LBB1_2
; %bb.1:
	s_load_dwordx16 s[8:23], s[4:5], 0x0
	v_mov_b32_e32 v7, 0
	v_lshlrev_b64 v[0:1], 19, v[6:7]
	v_mov_b32_e32 v11, v7
	v_mov_b32_e32 v13, v7
	s_waitcnt lgkmcnt(0)
	v_mov_b32_e32 v2, s9
	v_add_co_u32_e32 v24, vcc, s8, v0
	v_addc_co_u32_e32 v25, vcc, v2, v1, vcc
	v_lshlrev_b64 v[2:3], 11, v[10:11]
	v_add_co_u32_e32 v11, vcc, v24, v2
	v_addc_co_u32_e32 v16, vcc, v25, v3, vcc
	v_lshlrev_b64 v[4:5], 3, v[12:13]
	v_add_co_u32_e32 v8, vcc, v11, v4
	v_addc_co_u32_e32 v9, vcc, v16, v5, vcc
	v_add_u32_e32 v13, -1, v12
	s_movk_i32 s0, 0xff
	v_mov_b32_e32 v26, 0xff
	v_cmp_lt_i32_e32 vcc, 0, v12
	v_cndmask_b32_e32 v14, v26, v13, vcc
	v_add_u32_e32 v13, 1, v12
	v_cmp_gt_i32_e32 vcc, s0, v12
	v_cndmask_b32_e32 v12, 0, v13, vcc
	v_mov_b32_e32 v13, v7
	v_lshlrev_b64 v[12:13], 3, v[12:13]
	v_add_co_u32_e32 v12, vcc, v11, v12
	v_mov_b32_e32 v15, v7
	v_addc_co_u32_e32 v13, vcc, v16, v13, vcc
	v_lshlrev_b64 v[14:15], 3, v[14:15]
	global_load_dwordx2 v[8:9], v[8:9], off
	v_add_co_u32_e32 v14, vcc, v11, v14
	v_addc_co_u32_e32 v15, vcc, v16, v15, vcc
	v_add_u32_e32 v11, -1, v10
	v_cmp_lt_i32_e32 vcc, 0, v10
	v_cndmask_b32_e32 v16, v26, v11, vcc
	v_add_u32_e32 v11, 1, v10
	v_cmp_gt_i32_e32 vcc, s0, v10
	v_cndmask_b32_e32 v10, 0, v11, vcc
	v_mov_b32_e32 v11, v7
	v_lshlrev_b64 v[10:11], 11, v[10:11]
	v_add_co_u32_e32 v10, vcc, v24, v10
	v_addc_co_u32_e32 v11, vcc, v25, v11, vcc
	v_add_co_u32_e32 v10, vcc, v10, v4
	v_addc_co_u32_e32 v11, vcc, v11, v5, vcc
	v_mov_b32_e32 v17, v7
	global_load_dwordx2 v[18:19], v[12:13], off
	global_load_dwordx2 v[20:21], v[14:15], off
	;; [unrolled: 1-line block ×3, first 2 shown]
	v_lshlrev_b64 v[10:11], 11, v[16:17]
	v_add_co_u32_e32 v10, vcc, v24, v10
	v_addc_co_u32_e32 v11, vcc, v25, v11, vcc
	v_add_co_u32_e32 v10, vcc, v10, v4
	v_addc_co_u32_e32 v11, vcc, v11, v5, vcc
	v_add_u32_e32 v12, -1, v6
	v_cmp_ne_u32_e32 vcc, 0, v6
	v_cndmask_b32_e32 v12, v26, v12, vcc
	v_add_u32_e32 v13, 1, v6
	v_cmp_gt_u32_e32 vcc, s0, v6
	v_cndmask_b32_e32 v6, 0, v13, vcc
	v_lshlrev_b64 v[14:15], 19, v[6:7]
	global_load_dwordx2 v[10:11], v[10:11], off
	v_mov_b32_e32 v6, s9
	v_add_co_u32_e32 v13, vcc, s8, v14
	v_addc_co_u32_e32 v6, vcc, v6, v15, vcc
	v_add_co_u32_e32 v13, vcc, v13, v2
	v_addc_co_u32_e32 v6, vcc, v6, v3, vcc
	v_add_co_u32_e32 v14, vcc, v13, v4
	v_mov_b32_e32 v13, v7
	v_addc_co_u32_e32 v15, vcc, v6, v5, vcc
	v_lshlrev_b64 v[6:7], 19, v[12:13]
	v_mov_b32_e32 v12, s9
	v_add_co_u32_e32 v6, vcc, s8, v6
	v_addc_co_u32_e32 v7, vcc, v12, v7, vcc
	v_add_co_u32_e32 v6, vcc, v6, v2
	v_addc_co_u32_e32 v7, vcc, v7, v3, vcc
	;; [unrolled: 2-line block ×3, first 2 shown]
	global_load_dwordx2 v[12:13], v[14:15], off
	global_load_dwordx2 v[16:17], v[6:7], off
	s_load_dwordx2 s[0:1], s[4:5], 0x40
	s_waitcnt vmcnt(6)
	v_add_f64 v[6:7], v[8:9], v[8:9]
	v_fma_f64 v[14:15], v[8:9], v[8:9], v[6:7]
	v_fma_f64 v[6:7], v[8:9], v[8:9], -v[6:7]
	v_add_f64 v[6:7], v[6:7], 1.0
	v_add_f64 v[14:15], v[14:15], 1.0
	v_mul_f64 v[6:7], v[6:7], s[22:23]
	v_fmac_f64_e32 v[6:7], s[20:21], v[14:15]
	v_fma_f64 v[14:15], -v[8:9], v[8:9], 1.0
	v_add_f64 v[14:15], v[14:15], v[14:15]
	s_waitcnt lgkmcnt(0)
	v_fmac_f64_e32 v[6:7], s[0:1], v[14:15]
	s_mov_b32 s0, 0
	s_mov_b32 s1, 0x40020000
	v_mul_f64 v[6:7], v[6:7], s[0:1]
	s_mov_b32 s0, 0
	s_mov_b32 s1, 0x3ff80000
	v_mul_f64 v[14:15], v[8:9], s[0:1]
	v_fmac_f64_e32 v[6:7], v[8:9], v[14:15]
	v_ldexp_f64 v[14:15], v[8:9], -2
	v_mul_f64 v[14:15], v[8:9], v[14:15]
	v_mul_f64 v[14:15], v[8:9], v[14:15]
	v_fmac_f64_e32 v[6:7], v[8:9], v[14:15]
	s_waitcnt vmcnt(4)
	v_add_f64 v[18:19], v[18:19], -v[20:21]
	v_add_f64 v[20:21], s[12:13], s[12:13]
	v_div_scale_f64 v[24:25], s[0:1], v[20:21], v[20:21], v[18:19]
	v_rcp_f64_e32 v[26:27], v[24:25]
	v_mul_f64 v[8:9], s[18:19], 0.5
	v_fma_f64 v[14:15], -v[24:25], v[26:27], 1.0
	v_fmac_f64_e32 v[26:27], v[26:27], v[14:15]
	v_fma_f64 v[14:15], -v[24:25], v[26:27], 1.0
	v_fmac_f64_e32 v[26:27], v[26:27], v[14:15]
	v_div_scale_f64 v[14:15], vcc, v[18:19], v[20:21], v[18:19]
	v_mul_f64 v[28:29], v[14:15], v[26:27]
	v_fma_f64 v[14:15], -v[24:25], v[28:29], v[14:15]
	s_waitcnt vmcnt(2)
	v_add_f64 v[10:11], v[22:23], -v[10:11]
	v_add_f64 v[22:23], s[14:15], s[14:15]
	v_div_scale_f64 v[24:25], s[0:1], v[22:23], v[22:23], v[10:11]
	v_rcp_f64_e32 v[30:31], v[24:25]
	v_div_fmas_f64 v[14:15], v[14:15], v[26:27], v[28:29]
	v_div_fixup_f64 v[14:15], v[14:15], v[20:21], v[18:19]
	v_fma_f64 v[18:19], -v[24:25], v[30:31], 1.0
	v_fmac_f64_e32 v[30:31], v[30:31], v[18:19]
	v_fma_f64 v[18:19], -v[24:25], v[30:31], 1.0
	v_fmac_f64_e32 v[30:31], v[30:31], v[18:19]
	v_div_scale_f64 v[18:19], vcc, v[10:11], v[22:23], v[10:11]
	v_mul_f64 v[20:21], v[18:19], v[30:31]
	v_fma_f64 v[18:19], -v[24:25], v[20:21], v[18:19]
	s_waitcnt vmcnt(0)
	v_add_f64 v[12:13], v[12:13], -v[16:17]
	v_add_f64 v[16:17], s[16:17], s[16:17]
	v_div_fmas_f64 v[18:19], v[18:19], v[30:31], v[20:21]
	v_div_scale_f64 v[20:21], s[0:1], v[16:17], v[16:17], v[12:13]
	v_rcp_f64_e32 v[24:25], v[20:21]
	v_div_fixup_f64 v[10:11], v[18:19], v[22:23], v[10:11]
	v_mul_f64 v[10:11], v[10:11], v[10:11]
	v_fmac_f64_e32 v[10:11], v[14:15], v[14:15]
	v_fma_f64 v[14:15], -v[20:21], v[24:25], 1.0
	v_fmac_f64_e32 v[24:25], v[24:25], v[14:15]
	v_fma_f64 v[14:15], -v[20:21], v[24:25], 1.0
	v_fmac_f64_e32 v[24:25], v[24:25], v[14:15]
	v_div_scale_f64 v[14:15], vcc, v[12:13], v[16:17], v[12:13]
	v_mul_f64 v[18:19], v[14:15], v[24:25]
	v_fma_f64 v[14:15], -v[20:21], v[18:19], v[14:15]
	s_nop 1
	v_div_fmas_f64 v[14:15], v[14:15], v[24:25], v[18:19]
	v_div_fixup_f64 v[12:13], v[14:15], v[16:17], v[12:13]
	v_fmac_f64_e32 v[10:11], v[12:13], v[12:13]
	v_fmac_f64_e32 v[6:7], v[8:9], v[10:11]
	v_mov_b32_e32 v8, s11
	v_add_co_u32_e32 v0, vcc, s10, v0
	v_addc_co_u32_e32 v1, vcc, v8, v1, vcc
	v_add_co_u32_e32 v0, vcc, v0, v2
	v_addc_co_u32_e32 v1, vcc, v1, v3, vcc
	;; [unrolled: 2-line block ×3, first 2 shown]
	global_store_dwordx2 v[0:1], v[6:7], off
.LBB1_2:
	s_endpgm
	.section	.rodata,"a",@progbits
	.p2align	6, 0x0
	.amdhsa_kernel _Z25localFreeEnergyFunctionalPA256_A256_KdPA256_A256_dddddddd
		.amdhsa_group_segment_fixed_size 0
		.amdhsa_private_segment_fixed_size 0
		.amdhsa_kernarg_size 328
		.amdhsa_user_sgpr_count 6
		.amdhsa_user_sgpr_private_segment_buffer 1
		.amdhsa_user_sgpr_dispatch_ptr 0
		.amdhsa_user_sgpr_queue_ptr 0
		.amdhsa_user_sgpr_kernarg_segment_ptr 1
		.amdhsa_user_sgpr_dispatch_id 0
		.amdhsa_user_sgpr_flat_scratch_init 0
		.amdhsa_user_sgpr_kernarg_preload_length 0
		.amdhsa_user_sgpr_kernarg_preload_offset 0
		.amdhsa_user_sgpr_private_segment_size 0
		.amdhsa_uses_dynamic_stack 0
		.amdhsa_system_sgpr_private_segment_wavefront_offset 0
		.amdhsa_system_sgpr_workgroup_id_x 1
		.amdhsa_system_sgpr_workgroup_id_y 1
		.amdhsa_system_sgpr_workgroup_id_z 1
		.amdhsa_system_sgpr_workgroup_info 0
		.amdhsa_system_vgpr_workitem_id 2
		.amdhsa_next_free_vgpr 32
		.amdhsa_next_free_sgpr 24
		.amdhsa_accum_offset 32
		.amdhsa_reserve_vcc 1
		.amdhsa_reserve_flat_scratch 0
		.amdhsa_float_round_mode_32 0
		.amdhsa_float_round_mode_16_64 0
		.amdhsa_float_denorm_mode_32 3
		.amdhsa_float_denorm_mode_16_64 3
		.amdhsa_dx10_clamp 1
		.amdhsa_ieee_mode 1
		.amdhsa_fp16_overflow 0
		.amdhsa_tg_split 0
		.amdhsa_exception_fp_ieee_invalid_op 0
		.amdhsa_exception_fp_denorm_src 0
		.amdhsa_exception_fp_ieee_div_zero 0
		.amdhsa_exception_fp_ieee_overflow 0
		.amdhsa_exception_fp_ieee_underflow 0
		.amdhsa_exception_fp_ieee_inexact 0
		.amdhsa_exception_int_div_zero 0
	.end_amdhsa_kernel
	.text
.Lfunc_end1:
	.size	_Z25localFreeEnergyFunctionalPA256_A256_KdPA256_A256_dddddddd, .Lfunc_end1-_Z25localFreeEnergyFunctionalPA256_A256_KdPA256_A256_dddddddd
                                        ; -- End function
	.section	.AMDGPU.csdata,"",@progbits
; Kernel info:
; codeLenInByte = 1012
; NumSgprs: 28
; NumVgprs: 32
; NumAgprs: 0
; TotalNumVgprs: 32
; ScratchSize: 0
; MemoryBound: 0
; FloatMode: 240
; IeeeMode: 1
; LDSByteSize: 0 bytes/workgroup (compile time only)
; SGPRBlocks: 3
; VGPRBlocks: 3
; NumSGPRsForWavesPerEU: 28
; NumVGPRsForWavesPerEU: 32
; AccumOffset: 32
; Occupancy: 8
; WaveLimiterHint : 0
; COMPUTE_PGM_RSRC2:SCRATCH_EN: 0
; COMPUTE_PGM_RSRC2:USER_SGPR: 6
; COMPUTE_PGM_RSRC2:TRAP_HANDLER: 0
; COMPUTE_PGM_RSRC2:TGID_X_EN: 1
; COMPUTE_PGM_RSRC2:TGID_Y_EN: 1
; COMPUTE_PGM_RSRC2:TGID_Z_EN: 1
; COMPUTE_PGM_RSRC2:TIDIG_COMP_CNT: 2
; COMPUTE_PGM_RSRC3_GFX90A:ACCUM_OFFSET: 7
; COMPUTE_PGM_RSRC3_GFX90A:TG_SPLIT: 0
	.text
	.protected	_Z12cahnHilliardPA256_A256_dPA256_A256_KdS5_ddddd ; -- Begin function _Z12cahnHilliardPA256_A256_dPA256_A256_KdS5_ddddd
	.globl	_Z12cahnHilliardPA256_A256_dPA256_A256_KdS5_ddddd
	.p2align	8
	.type	_Z12cahnHilliardPA256_A256_dPA256_A256_KdS5_ddddd,@function
_Z12cahnHilliardPA256_A256_dPA256_A256_KdS5_ddddd: ; @_Z12cahnHilliardPA256_A256_dPA256_A256_KdS5_ddddd
; %bb.0:
	s_load_dwordx2 s[0:1], s[4:5], 0x4c
	v_and_b32_e32 v1, 0x3ff, v0
	s_waitcnt lgkmcnt(0)
	s_lshr_b32 s2, s0, 16
	s_and_b32 s0, s0, 0xffff
	s_and_b32 s1, s1, 0xffff
	s_mul_i32 s6, s6, s0
	v_add_u32_e32 v8, s6, v1
	s_mul_i32 s8, s8, s1
	s_mul_i32 s7, s7, s2
	v_bfe_u32 v1, v0, 10, 10
	v_bfe_u32 v0, v0, 20, 10
	v_add_u32_e32 v10, s7, v1
	v_add_u32_e32 v6, s8, v0
	v_or3_b32 v0, v10, v8, v6
	s_movk_i32 s0, 0x100
	v_cmp_gt_u32_e32 vcc, s0, v0
	s_and_saveexec_b64 s[0:1], vcc
	s_cbranch_execz .LBB2_2
; %bb.1:
	v_mov_b32_e32 v7, 0
	v_mov_b32_e32 v9, v7
	v_mov_b32_e32 v11, v7
	v_lshlrev_b64 v[4:5], 3, v[8:9]
	v_add_u32_e32 v9, -1, v8
	v_mov_b32_e32 v15, 0xff
	v_cmp_lt_i32_e32 vcc, 0, v8
	v_lshlrev_b64 v[2:3], 11, v[10:11]
	v_add_u32_e32 v11, -1, v10
	v_cndmask_b32_e32 v12, v15, v9, vcc
	v_cmp_lt_i32_e32 vcc, 0, v10
	s_load_dwordx16 s[0:15], s[4:5], 0x0
	v_add_u32_e32 v13, -1, v6
	s_movk_i32 s16, 0xff
	v_cndmask_b32_e32 v14, v15, v11, vcc
	v_cmp_ne_u32_e32 vcc, 0, v6
	v_cndmask_b32_e32 v16, v15, v13, vcc
	v_add_u32_e32 v9, 1, v6
	v_cmp_gt_u32_e32 vcc, s16, v6
	v_lshlrev_b64 v[0:1], 19, v[6:7]
	v_cndmask_b32_e32 v18, 0, v9, vcc
	v_add_u32_e32 v6, 1, v10
	v_cmp_gt_i32_e32 vcc, s16, v10
	v_cndmask_b32_e32 v10, 0, v6, vcc
	v_add_u32_e32 v6, 1, v8
	v_cmp_gt_i32_e32 vcc, s16, v8
	v_cndmask_b32_e32 v6, 0, v6, vcc
	v_lshlrev_b64 v[8:9], 3, v[6:7]
	s_waitcnt lgkmcnt(0)
	v_mov_b32_e32 v6, s5
	v_add_co_u32_e32 v17, vcc, s4, v0
	v_addc_co_u32_e32 v6, vcc, v6, v1, vcc
	v_add_co_u32_e32 v11, vcc, v17, v2
	v_addc_co_u32_e32 v15, vcc, v6, v3, vcc
	v_add_co_u32_e32 v8, vcc, v11, v8
	v_mov_b32_e32 v13, v7
	v_addc_co_u32_e32 v9, vcc, v15, v9, vcc
	v_lshlrev_b64 v[12:13], 3, v[12:13]
	v_add_co_u32_e32 v12, vcc, v11, v12
	v_addc_co_u32_e32 v13, vcc, v15, v13, vcc
	v_add_co_u32_e32 v20, vcc, v11, v4
	v_mov_b32_e32 v11, v7
	v_addc_co_u32_e32 v21, vcc, v15, v5, vcc
	v_lshlrev_b64 v[10:11], 11, v[10:11]
	v_add_co_u32_e32 v10, vcc, v17, v10
	v_addc_co_u32_e32 v11, vcc, v6, v11, vcc
	v_add_co_u32_e32 v10, vcc, v10, v4
	v_mov_b32_e32 v15, v7
	v_addc_co_u32_e32 v11, vcc, v11, v5, vcc
	global_load_dwordx2 v[22:23], v[8:9], off
	global_load_dwordx2 v[24:25], v[12:13], off
	global_load_dwordx2 v[26:27], v[20:21], off
	global_load_dwordx2 v[28:29], v[10:11], off
	v_lshlrev_b64 v[8:9], 11, v[14:15]
	v_add_co_u32_e32 v8, vcc, v17, v8
	v_addc_co_u32_e32 v6, vcc, v6, v9, vcc
	v_add_co_u32_e32 v8, vcc, v8, v4
	v_mov_b32_e32 v19, v7
	v_addc_co_u32_e32 v9, vcc, v6, v5, vcc
	v_lshlrev_b64 v[10:11], 19, v[18:19]
	v_mov_b32_e32 v6, s5
	v_add_co_u32_e32 v10, vcc, s4, v10
	v_addc_co_u32_e32 v6, vcc, v6, v11, vcc
	v_add_co_u32_e32 v10, vcc, v10, v2
	v_addc_co_u32_e32 v6, vcc, v6, v3, vcc
	global_load_dwordx2 v[8:9], v[8:9], off
	v_add_co_u32_e32 v10, vcc, v10, v4
	v_mov_b32_e32 v17, v7
	v_addc_co_u32_e32 v11, vcc, v6, v5, vcc
	v_lshlrev_b64 v[6:7], 19, v[16:17]
	v_mov_b32_e32 v12, s5
	v_add_co_u32_e32 v6, vcc, s4, v6
	v_addc_co_u32_e32 v7, vcc, v12, v7, vcc
	v_add_co_u32_e32 v6, vcc, v6, v2
	v_addc_co_u32_e32 v7, vcc, v7, v3, vcc
	;; [unrolled: 2-line block ×3, first 2 shown]
	global_load_dwordx2 v[12:13], v[10:11], off
	global_load_dwordx2 v[14:15], v[6:7], off
	v_mov_b32_e32 v6, s3
	v_add_co_u32_e32 v7, vcc, s2, v0
	v_addc_co_u32_e32 v6, vcc, v6, v1, vcc
	v_add_co_u32_e32 v7, vcc, v7, v2
	v_addc_co_u32_e32 v10, vcc, v6, v3, vcc
	;; [unrolled: 2-line block ×3, first 2 shown]
	global_load_dwordx2 v[6:7], v[6:7], off
	v_mul_f64 v[16:17], s[10:11], s[10:11]
	s_waitcnt vmcnt(6)
	v_add_f64 v[10:11], v[22:23], v[24:25]
	s_waitcnt vmcnt(5)
	v_fmac_f64_e32 v[10:11], -2.0, v[26:27]
	v_div_scale_f64 v[18:19], s[2:3], v[16:17], v[16:17], v[10:11]
	v_rcp_f64_e32 v[20:21], v[18:19]
	v_mov_b32_e32 v22, s8
	v_mov_b32_e32 v23, s9
	v_mul_f64 v[22:23], s[6:7], v[22:23]
	v_fma_f64 v[24:25], -v[18:19], v[20:21], 1.0
	v_fmac_f64_e32 v[20:21], v[20:21], v[24:25]
	v_fma_f64 v[24:25], -v[18:19], v[20:21], 1.0
	v_fmac_f64_e32 v[20:21], v[20:21], v[24:25]
	v_div_scale_f64 v[24:25], vcc, v[10:11], v[16:17], v[10:11]
	v_mul_f64 v[30:31], v[24:25], v[20:21]
	v_fma_f64 v[18:19], -v[18:19], v[30:31], v[24:25]
	v_mul_f64 v[24:25], s[12:13], s[12:13]
	s_nop 0
	v_div_fmas_f64 v[18:19], v[18:19], v[20:21], v[30:31]
	v_div_fixup_f64 v[10:11], v[18:19], v[16:17], v[10:11]
	s_waitcnt vmcnt(3)
	v_add_f64 v[8:9], v[28:29], v[8:9]
	v_fmac_f64_e32 v[8:9], -2.0, v[26:27]
	v_div_scale_f64 v[28:29], s[2:3], v[24:25], v[24:25], v[8:9]
	v_rcp_f64_e32 v[32:33], v[28:29]
	v_fma_f64 v[16:17], -v[28:29], v[32:33], 1.0
	v_fmac_f64_e32 v[32:33], v[32:33], v[16:17]
	v_fma_f64 v[16:17], -v[28:29], v[32:33], 1.0
	v_fmac_f64_e32 v[32:33], v[32:33], v[16:17]
	v_div_scale_f64 v[16:17], vcc, v[8:9], v[24:25], v[8:9]
	v_mul_f64 v[18:19], v[16:17], v[32:33]
	v_fma_f64 v[16:17], -v[28:29], v[18:19], v[16:17]
	s_waitcnt vmcnt(1)
	v_add_f64 v[12:13], v[12:13], v[14:15]
	v_fmac_f64_e32 v[12:13], -2.0, v[26:27]
	v_mul_f64 v[14:15], s[14:15], s[14:15]
	v_div_scale_f64 v[20:21], s[2:3], v[14:15], v[14:15], v[12:13]
	v_rcp_f64_e32 v[26:27], v[20:21]
	v_div_fmas_f64 v[16:17], v[16:17], v[32:33], v[18:19]
	v_div_fixup_f64 v[8:9], v[16:17], v[24:25], v[8:9]
	v_add_f64 v[8:9], v[10:11], v[8:9]
	v_fma_f64 v[16:17], -v[20:21], v[26:27], 1.0
	v_fmac_f64_e32 v[26:27], v[26:27], v[16:17]
	v_fma_f64 v[16:17], -v[20:21], v[26:27], 1.0
	v_fmac_f64_e32 v[26:27], v[26:27], v[16:17]
	v_div_scale_f64 v[16:17], vcc, v[12:13], v[14:15], v[12:13]
	v_mul_f64 v[18:19], v[16:17], v[26:27]
	v_fma_f64 v[16:17], -v[20:21], v[18:19], v[16:17]
	s_nop 1
	v_div_fmas_f64 v[16:17], v[16:17], v[26:27], v[18:19]
	v_div_fixup_f64 v[12:13], v[16:17], v[14:15], v[12:13]
	v_add_f64 v[8:9], v[8:9], v[12:13]
	s_waitcnt vmcnt(0)
	v_fmac_f64_e32 v[6:7], v[22:23], v[8:9]
	v_mov_b32_e32 v8, s1
	v_add_co_u32_e32 v0, vcc, s0, v0
	v_addc_co_u32_e32 v1, vcc, v8, v1, vcc
	v_add_co_u32_e32 v0, vcc, v0, v2
	v_addc_co_u32_e32 v1, vcc, v1, v3, vcc
	;; [unrolled: 2-line block ×3, first 2 shown]
	global_store_dwordx2 v[0:1], v[6:7], off
.LBB2_2:
	s_endpgm
	.section	.rodata,"a",@progbits
	.p2align	6, 0x0
	.amdhsa_kernel _Z12cahnHilliardPA256_A256_dPA256_A256_KdS5_ddddd
		.amdhsa_group_segment_fixed_size 0
		.amdhsa_private_segment_fixed_size 0
		.amdhsa_kernarg_size 320
		.amdhsa_user_sgpr_count 6
		.amdhsa_user_sgpr_private_segment_buffer 1
		.amdhsa_user_sgpr_dispatch_ptr 0
		.amdhsa_user_sgpr_queue_ptr 0
		.amdhsa_user_sgpr_kernarg_segment_ptr 1
		.amdhsa_user_sgpr_dispatch_id 0
		.amdhsa_user_sgpr_flat_scratch_init 0
		.amdhsa_user_sgpr_kernarg_preload_length 0
		.amdhsa_user_sgpr_kernarg_preload_offset 0
		.amdhsa_user_sgpr_private_segment_size 0
		.amdhsa_uses_dynamic_stack 0
		.amdhsa_system_sgpr_private_segment_wavefront_offset 0
		.amdhsa_system_sgpr_workgroup_id_x 1
		.amdhsa_system_sgpr_workgroup_id_y 1
		.amdhsa_system_sgpr_workgroup_id_z 1
		.amdhsa_system_sgpr_workgroup_info 0
		.amdhsa_system_vgpr_workitem_id 2
		.amdhsa_next_free_vgpr 34
		.amdhsa_next_free_sgpr 17
		.amdhsa_accum_offset 36
		.amdhsa_reserve_vcc 1
		.amdhsa_reserve_flat_scratch 0
		.amdhsa_float_round_mode_32 0
		.amdhsa_float_round_mode_16_64 0
		.amdhsa_float_denorm_mode_32 3
		.amdhsa_float_denorm_mode_16_64 3
		.amdhsa_dx10_clamp 1
		.amdhsa_ieee_mode 1
		.amdhsa_fp16_overflow 0
		.amdhsa_tg_split 0
		.amdhsa_exception_fp_ieee_invalid_op 0
		.amdhsa_exception_fp_denorm_src 0
		.amdhsa_exception_fp_ieee_div_zero 0
		.amdhsa_exception_fp_ieee_overflow 0
		.amdhsa_exception_fp_ieee_underflow 0
		.amdhsa_exception_fp_ieee_inexact 0
		.amdhsa_exception_int_div_zero 0
	.end_amdhsa_kernel
	.text
.Lfunc_end2:
	.size	_Z12cahnHilliardPA256_A256_dPA256_A256_KdS5_ddddd, .Lfunc_end2-_Z12cahnHilliardPA256_A256_dPA256_A256_KdS5_ddddd
                                        ; -- End function
	.section	.AMDGPU.csdata,"",@progbits
; Kernel info:
; codeLenInByte = 920
; NumSgprs: 21
; NumVgprs: 34
; NumAgprs: 0
; TotalNumVgprs: 34
; ScratchSize: 0
; MemoryBound: 0
; FloatMode: 240
; IeeeMode: 1
; LDSByteSize: 0 bytes/workgroup (compile time only)
; SGPRBlocks: 2
; VGPRBlocks: 4
; NumSGPRsForWavesPerEU: 21
; NumVGPRsForWavesPerEU: 34
; AccumOffset: 36
; Occupancy: 8
; WaveLimiterHint : 0
; COMPUTE_PGM_RSRC2:SCRATCH_EN: 0
; COMPUTE_PGM_RSRC2:USER_SGPR: 6
; COMPUTE_PGM_RSRC2:TRAP_HANDLER: 0
; COMPUTE_PGM_RSRC2:TGID_X_EN: 1
; COMPUTE_PGM_RSRC2:TGID_Y_EN: 1
; COMPUTE_PGM_RSRC2:TGID_Z_EN: 1
; COMPUTE_PGM_RSRC2:TIDIG_COMP_CNT: 2
; COMPUTE_PGM_RSRC3_GFX90A:ACCUM_OFFSET: 8
; COMPUTE_PGM_RSRC3_GFX90A:TG_SPLIT: 0
	.text
	.protected	_Z4SwapPA256_A256_dS1_  ; -- Begin function _Z4SwapPA256_A256_dS1_
	.globl	_Z4SwapPA256_A256_dS1_
	.p2align	8
	.type	_Z4SwapPA256_A256_dS1_,@function
_Z4SwapPA256_A256_dS1_:                 ; @_Z4SwapPA256_A256_dS1_
; %bb.0:
	s_load_dwordx2 s[0:1], s[4:5], 0x1c
	v_and_b32_e32 v1, 0x3ff, v0
	s_waitcnt lgkmcnt(0)
	s_lshr_b32 s2, s0, 16
	s_and_b32 s0, s0, 0xffff
	s_and_b32 s1, s1, 0xffff
	s_mul_i32 s6, s6, s0
	v_add_u32_e32 v2, s6, v1
	s_mul_i32 s8, s8, s1
	s_mul_i32 s7, s7, s2
	v_bfe_u32 v1, v0, 10, 10
	v_bfe_u32 v0, v0, 20, 10
	v_add_u32_e32 v4, s7, v1
	v_add_u32_e32 v0, s8, v0
	v_or3_b32 v1, v4, v2, v0
	s_movk_i32 s0, 0x100
	v_cmp_gt_u32_e32 vcc, s0, v1
	s_and_saveexec_b64 s[0:1], vcc
	s_cbranch_execz .LBB3_2
; %bb.1:
	s_load_dwordx4 s[0:3], s[4:5], 0x0
	v_mov_b32_e32 v1, 0
	v_mov_b32_e32 v5, v1
	;; [unrolled: 1-line block ×3, first 2 shown]
	v_lshlrev_b64 v[0:1], 19, v[0:1]
	s_waitcnt lgkmcnt(0)
	v_mov_b32_e32 v6, s3
	v_add_co_u32_e32 v7, vcc, s2, v0
	v_addc_co_u32_e32 v6, vcc, v6, v1, vcc
	v_lshlrev_b64 v[4:5], 11, v[4:5]
	v_add_co_u32_e32 v7, vcc, v7, v4
	v_addc_co_u32_e32 v8, vcc, v6, v5, vcc
	v_lshlrev_b64 v[2:3], 3, v[2:3]
	v_add_co_u32_e32 v6, vcc, v7, v2
	v_addc_co_u32_e32 v7, vcc, v8, v3, vcc
	v_mov_b32_e32 v8, s1
	v_add_co_u32_e32 v0, vcc, s0, v0
	v_addc_co_u32_e32 v1, vcc, v8, v1, vcc
	v_add_co_u32_e32 v0, vcc, v0, v4
	v_addc_co_u32_e32 v1, vcc, v1, v5, vcc
	;; [unrolled: 2-line block ×3, first 2 shown]
	global_load_dwordx2 v[2:3], v[6:7], off
	global_load_dwordx2 v[4:5], v[0:1], off
	s_waitcnt vmcnt(1)
	global_store_dwordx2 v[0:1], v[2:3], off
	s_waitcnt vmcnt(1)
	global_store_dwordx2 v[6:7], v[4:5], off
.LBB3_2:
	s_endpgm
	.section	.rodata,"a",@progbits
	.p2align	6, 0x0
	.amdhsa_kernel _Z4SwapPA256_A256_dS1_
		.amdhsa_group_segment_fixed_size 0
		.amdhsa_private_segment_fixed_size 0
		.amdhsa_kernarg_size 272
		.amdhsa_user_sgpr_count 6
		.amdhsa_user_sgpr_private_segment_buffer 1
		.amdhsa_user_sgpr_dispatch_ptr 0
		.amdhsa_user_sgpr_queue_ptr 0
		.amdhsa_user_sgpr_kernarg_segment_ptr 1
		.amdhsa_user_sgpr_dispatch_id 0
		.amdhsa_user_sgpr_flat_scratch_init 0
		.amdhsa_user_sgpr_kernarg_preload_length 0
		.amdhsa_user_sgpr_kernarg_preload_offset 0
		.amdhsa_user_sgpr_private_segment_size 0
		.amdhsa_uses_dynamic_stack 0
		.amdhsa_system_sgpr_private_segment_wavefront_offset 0
		.amdhsa_system_sgpr_workgroup_id_x 1
		.amdhsa_system_sgpr_workgroup_id_y 1
		.amdhsa_system_sgpr_workgroup_id_z 1
		.amdhsa_system_sgpr_workgroup_info 0
		.amdhsa_system_vgpr_workitem_id 2
		.amdhsa_next_free_vgpr 9
		.amdhsa_next_free_sgpr 9
		.amdhsa_accum_offset 12
		.amdhsa_reserve_vcc 1
		.amdhsa_reserve_flat_scratch 0
		.amdhsa_float_round_mode_32 0
		.amdhsa_float_round_mode_16_64 0
		.amdhsa_float_denorm_mode_32 3
		.amdhsa_float_denorm_mode_16_64 3
		.amdhsa_dx10_clamp 1
		.amdhsa_ieee_mode 1
		.amdhsa_fp16_overflow 0
		.amdhsa_tg_split 0
		.amdhsa_exception_fp_ieee_invalid_op 0
		.amdhsa_exception_fp_denorm_src 0
		.amdhsa_exception_fp_ieee_div_zero 0
		.amdhsa_exception_fp_ieee_overflow 0
		.amdhsa_exception_fp_ieee_underflow 0
		.amdhsa_exception_fp_ieee_inexact 0
		.amdhsa_exception_int_div_zero 0
	.end_amdhsa_kernel
	.text
.Lfunc_end3:
	.size	_Z4SwapPA256_A256_dS1_, .Lfunc_end3-_Z4SwapPA256_A256_dS1_
                                        ; -- End function
	.section	.AMDGPU.csdata,"",@progbits
; Kernel info:
; codeLenInByte = 252
; NumSgprs: 13
; NumVgprs: 9
; NumAgprs: 0
; TotalNumVgprs: 9
; ScratchSize: 0
; MemoryBound: 0
; FloatMode: 240
; IeeeMode: 1
; LDSByteSize: 0 bytes/workgroup (compile time only)
; SGPRBlocks: 1
; VGPRBlocks: 1
; NumSGPRsForWavesPerEU: 13
; NumVGPRsForWavesPerEU: 9
; AccumOffset: 12
; Occupancy: 8
; WaveLimiterHint : 0
; COMPUTE_PGM_RSRC2:SCRATCH_EN: 0
; COMPUTE_PGM_RSRC2:USER_SGPR: 6
; COMPUTE_PGM_RSRC2:TRAP_HANDLER: 0
; COMPUTE_PGM_RSRC2:TGID_X_EN: 1
; COMPUTE_PGM_RSRC2:TGID_Y_EN: 1
; COMPUTE_PGM_RSRC2:TGID_Z_EN: 1
; COMPUTE_PGM_RSRC2:TIDIG_COMP_CNT: 2
; COMPUTE_PGM_RSRC3_GFX90A:ACCUM_OFFSET: 2
; COMPUTE_PGM_RSRC3_GFX90A:TG_SPLIT: 0
	.text
	.p2alignl 6, 3212836864
	.fill 256, 4, 3212836864
	.type	__hip_cuid_62f42771d45bbaf9,@object ; @__hip_cuid_62f42771d45bbaf9
	.section	.bss,"aw",@nobits
	.globl	__hip_cuid_62f42771d45bbaf9
__hip_cuid_62f42771d45bbaf9:
	.byte	0                               ; 0x0
	.size	__hip_cuid_62f42771d45bbaf9, 1

	.ident	"AMD clang version 19.0.0git (https://github.com/RadeonOpenCompute/llvm-project roc-6.4.0 25133 c7fe45cf4b819c5991fe208aaa96edf142730f1d)"
	.section	".note.GNU-stack","",@progbits
	.addrsig
	.addrsig_sym __hip_cuid_62f42771d45bbaf9
	.amdgpu_metadata
---
amdhsa.kernels:
  - .agpr_count:     0
    .args:
      - .address_space:  global
        .offset:         0
        .size:           8
        .value_kind:     global_buffer
      - .address_space:  global
        .offset:         8
        .size:           8
        .value_kind:     global_buffer
      - .offset:         16
        .size:           8
        .value_kind:     by_value
      - .offset:         24
        .size:           8
        .value_kind:     by_value
      - .offset:         32
        .size:           8
        .value_kind:     by_value
      - .offset:         40
        .size:           8
        .value_kind:     by_value
      - .offset:         48
        .size:           8
        .value_kind:     by_value
      - .offset:         56
        .size:           8
        .value_kind:     by_value
      - .offset:         64
        .size:           8
        .value_kind:     by_value
      - .offset:         72
        .size:           4
        .value_kind:     hidden_block_count_x
      - .offset:         76
        .size:           4
        .value_kind:     hidden_block_count_y
      - .offset:         80
        .size:           4
        .value_kind:     hidden_block_count_z
      - .offset:         84
        .size:           2
        .value_kind:     hidden_group_size_x
      - .offset:         86
        .size:           2
        .value_kind:     hidden_group_size_y
      - .offset:         88
        .size:           2
        .value_kind:     hidden_group_size_z
      - .offset:         90
        .size:           2
        .value_kind:     hidden_remainder_x
      - .offset:         92
        .size:           2
        .value_kind:     hidden_remainder_y
      - .offset:         94
        .size:           2
        .value_kind:     hidden_remainder_z
      - .offset:         112
        .size:           8
        .value_kind:     hidden_global_offset_x
      - .offset:         120
        .size:           8
        .value_kind:     hidden_global_offset_y
      - .offset:         128
        .size:           8
        .value_kind:     hidden_global_offset_z
      - .offset:         136
        .size:           2
        .value_kind:     hidden_grid_dims
    .group_segment_fixed_size: 0
    .kernarg_segment_align: 8
    .kernarg_segment_size: 328
    .language:       OpenCL C
    .language_version:
      - 2
      - 0
    .max_flat_workgroup_size: 1024
    .name:           _Z17chemicalPotentialPA256_A256_KdPA256_A256_dddddddd
    .private_segment_fixed_size: 0
    .sgpr_count:     28
    .sgpr_spill_count: 0
    .symbol:         _Z17chemicalPotentialPA256_A256_KdPA256_A256_dddddddd.kd
    .uniform_work_group_size: 1
    .uses_dynamic_stack: false
    .vgpr_count:     32
    .vgpr_spill_count: 0
    .wavefront_size: 64
  - .agpr_count:     0
    .args:
      - .address_space:  global
        .offset:         0
        .size:           8
        .value_kind:     global_buffer
      - .address_space:  global
        .offset:         8
        .size:           8
        .value_kind:     global_buffer
      - .offset:         16
        .size:           8
        .value_kind:     by_value
      - .offset:         24
        .size:           8
        .value_kind:     by_value
      - .offset:         32
        .size:           8
        .value_kind:     by_value
      - .offset:         40
        .size:           8
        .value_kind:     by_value
      - .offset:         48
        .size:           8
        .value_kind:     by_value
      - .offset:         56
        .size:           8
        .value_kind:     by_value
      - .offset:         64
        .size:           8
        .value_kind:     by_value
      - .offset:         72
        .size:           4
        .value_kind:     hidden_block_count_x
      - .offset:         76
        .size:           4
        .value_kind:     hidden_block_count_y
      - .offset:         80
        .size:           4
        .value_kind:     hidden_block_count_z
      - .offset:         84
        .size:           2
        .value_kind:     hidden_group_size_x
      - .offset:         86
        .size:           2
        .value_kind:     hidden_group_size_y
      - .offset:         88
        .size:           2
        .value_kind:     hidden_group_size_z
      - .offset:         90
        .size:           2
        .value_kind:     hidden_remainder_x
      - .offset:         92
        .size:           2
        .value_kind:     hidden_remainder_y
      - .offset:         94
        .size:           2
        .value_kind:     hidden_remainder_z
      - .offset:         112
        .size:           8
        .value_kind:     hidden_global_offset_x
      - .offset:         120
        .size:           8
        .value_kind:     hidden_global_offset_y
      - .offset:         128
        .size:           8
        .value_kind:     hidden_global_offset_z
      - .offset:         136
        .size:           2
        .value_kind:     hidden_grid_dims
    .group_segment_fixed_size: 0
    .kernarg_segment_align: 8
    .kernarg_segment_size: 328
    .language:       OpenCL C
    .language_version:
      - 2
      - 0
    .max_flat_workgroup_size: 1024
    .name:           _Z25localFreeEnergyFunctionalPA256_A256_KdPA256_A256_dddddddd
    .private_segment_fixed_size: 0
    .sgpr_count:     28
    .sgpr_spill_count: 0
    .symbol:         _Z25localFreeEnergyFunctionalPA256_A256_KdPA256_A256_dddddddd.kd
    .uniform_work_group_size: 1
    .uses_dynamic_stack: false
    .vgpr_count:     32
    .vgpr_spill_count: 0
    .wavefront_size: 64
  - .agpr_count:     0
    .args:
      - .address_space:  global
        .offset:         0
        .size:           8
        .value_kind:     global_buffer
      - .address_space:  global
        .offset:         8
        .size:           8
        .value_kind:     global_buffer
      - .address_space:  global
        .offset:         16
        .size:           8
        .value_kind:     global_buffer
      - .offset:         24
        .size:           8
        .value_kind:     by_value
      - .offset:         32
        .size:           8
        .value_kind:     by_value
      - .offset:         40
        .size:           8
        .value_kind:     by_value
      - .offset:         48
        .size:           8
        .value_kind:     by_value
      - .offset:         56
        .size:           8
        .value_kind:     by_value
      - .offset:         64
        .size:           4
        .value_kind:     hidden_block_count_x
      - .offset:         68
        .size:           4
        .value_kind:     hidden_block_count_y
      - .offset:         72
        .size:           4
        .value_kind:     hidden_block_count_z
      - .offset:         76
        .size:           2
        .value_kind:     hidden_group_size_x
      - .offset:         78
        .size:           2
        .value_kind:     hidden_group_size_y
      - .offset:         80
        .size:           2
        .value_kind:     hidden_group_size_z
      - .offset:         82
        .size:           2
        .value_kind:     hidden_remainder_x
      - .offset:         84
        .size:           2
        .value_kind:     hidden_remainder_y
      - .offset:         86
        .size:           2
        .value_kind:     hidden_remainder_z
      - .offset:         104
        .size:           8
        .value_kind:     hidden_global_offset_x
      - .offset:         112
        .size:           8
        .value_kind:     hidden_global_offset_y
      - .offset:         120
        .size:           8
        .value_kind:     hidden_global_offset_z
      - .offset:         128
        .size:           2
        .value_kind:     hidden_grid_dims
    .group_segment_fixed_size: 0
    .kernarg_segment_align: 8
    .kernarg_segment_size: 320
    .language:       OpenCL C
    .language_version:
      - 2
      - 0
    .max_flat_workgroup_size: 1024
    .name:           _Z12cahnHilliardPA256_A256_dPA256_A256_KdS5_ddddd
    .private_segment_fixed_size: 0
    .sgpr_count:     21
    .sgpr_spill_count: 0
    .symbol:         _Z12cahnHilliardPA256_A256_dPA256_A256_KdS5_ddddd.kd
    .uniform_work_group_size: 1
    .uses_dynamic_stack: false
    .vgpr_count:     34
    .vgpr_spill_count: 0
    .wavefront_size: 64
  - .agpr_count:     0
    .args:
      - .address_space:  global
        .offset:         0
        .size:           8
        .value_kind:     global_buffer
      - .address_space:  global
        .offset:         8
        .size:           8
        .value_kind:     global_buffer
      - .offset:         16
        .size:           4
        .value_kind:     hidden_block_count_x
      - .offset:         20
        .size:           4
        .value_kind:     hidden_block_count_y
      - .offset:         24
        .size:           4
        .value_kind:     hidden_block_count_z
      - .offset:         28
        .size:           2
        .value_kind:     hidden_group_size_x
      - .offset:         30
        .size:           2
        .value_kind:     hidden_group_size_y
      - .offset:         32
        .size:           2
        .value_kind:     hidden_group_size_z
      - .offset:         34
        .size:           2
        .value_kind:     hidden_remainder_x
      - .offset:         36
        .size:           2
        .value_kind:     hidden_remainder_y
      - .offset:         38
        .size:           2
        .value_kind:     hidden_remainder_z
      - .offset:         56
        .size:           8
        .value_kind:     hidden_global_offset_x
      - .offset:         64
        .size:           8
        .value_kind:     hidden_global_offset_y
      - .offset:         72
        .size:           8
        .value_kind:     hidden_global_offset_z
      - .offset:         80
        .size:           2
        .value_kind:     hidden_grid_dims
    .group_segment_fixed_size: 0
    .kernarg_segment_align: 8
    .kernarg_segment_size: 272
    .language:       OpenCL C
    .language_version:
      - 2
      - 0
    .max_flat_workgroup_size: 1024
    .name:           _Z4SwapPA256_A256_dS1_
    .private_segment_fixed_size: 0
    .sgpr_count:     13
    .sgpr_spill_count: 0
    .symbol:         _Z4SwapPA256_A256_dS1_.kd
    .uniform_work_group_size: 1
    .uses_dynamic_stack: false
    .vgpr_count:     9
    .vgpr_spill_count: 0
    .wavefront_size: 64
amdhsa.target:   amdgcn-amd-amdhsa--gfx90a
amdhsa.version:
  - 1
  - 2
...

	.end_amdgpu_metadata
